;; amdgpu-corpus repo=llvm/llvm-project kind=harvested arch=n/a opt=n/a
// NOTE: Assertions have been autogenerated by utils/update_mc_test_checks.py UTC_ARGS: --version 5
// RUN: llvm-mc -triple=amdgcn -mcpu=gfx1170 -show-encoding %s | FileCheck --check-prefixes=GFX1170 %s
// RUN: llvm-mc -triple=amdgcn -mcpu=gfx1170 -show-encoding %s | %extract-encodings | llvm-mc -triple=amdgcn -mcpu=gfx1170 -disassemble -show-encoding | FileCheck --strict-whitespace --check-prefixes=GFX1170 %s

v_pk_min_f16 v0, v1, v2
// GFX1170: v_pk_min_num_f16 v0, v1, v2             ; encoding: [0x00,0x40,0x11,0xcc,0x01,0x05,0x02,0x1a]

v_pk_max_f16 v0, v1, v2
// GFX1170: v_pk_max_num_f16 v0, v1, v2             ; encoding: [0x00,0x40,0x12,0xcc,0x01,0x05,0x02,0x1a]
